;; amdgpu-corpus repo=ROCm/rocFFT kind=compiled arch=gfx1100 opt=O3
	.text
	.amdgcn_target "amdgcn-amd-amdhsa--gfx1100"
	.amdhsa_code_object_version 6
	.protected	fft_rtc_back_len864_factors_3_6_16_3_wgs_54_tpt_54_halfLds_half_op_CI_CI_unitstride_sbrr_dirReg ; -- Begin function fft_rtc_back_len864_factors_3_6_16_3_wgs_54_tpt_54_halfLds_half_op_CI_CI_unitstride_sbrr_dirReg
	.globl	fft_rtc_back_len864_factors_3_6_16_3_wgs_54_tpt_54_halfLds_half_op_CI_CI_unitstride_sbrr_dirReg
	.p2align	8
	.type	fft_rtc_back_len864_factors_3_6_16_3_wgs_54_tpt_54_halfLds_half_op_CI_CI_unitstride_sbrr_dirReg,@function
fft_rtc_back_len864_factors_3_6_16_3_wgs_54_tpt_54_halfLds_half_op_CI_CI_unitstride_sbrr_dirReg: ; @fft_rtc_back_len864_factors_3_6_16_3_wgs_54_tpt_54_halfLds_half_op_CI_CI_unitstride_sbrr_dirReg
; %bb.0:
	s_clause 0x2
	s_load_b128 s[4:7], s[0:1], 0x0
	s_load_b128 s[8:11], s[0:1], 0x58
	;; [unrolled: 1-line block ×3, first 2 shown]
	v_mul_u32_u24_e32 v1, 0x4be, v0
	v_mov_b32_e32 v8, 0
	s_delay_alu instid0(VALU_DEP_2) | instskip(NEXT) | instid1(VALU_DEP_1)
	v_lshrrev_b32_e32 v1, 16, v1
	v_dual_mov_b32 v1, 0 :: v_dual_add_nc_u32 v10, s15, v1
	s_delay_alu instid0(VALU_DEP_3) | instskip(SKIP_2) | instid1(VALU_DEP_1)
	v_dual_mov_b32 v11, v8 :: v_dual_mov_b32 v2, 0
	s_waitcnt lgkmcnt(0)
	v_cmp_lt_u64_e64 s2, s[6:7], 2
	s_and_b32 vcc_lo, exec_lo, s2
	s_cbranch_vccnz .LBB0_8
; %bb.1:
	s_load_b64 s[2:3], s[0:1], 0x10
	v_mov_b32_e32 v1, 0
	v_mov_b32_e32 v2, 0
	s_add_u32 s12, s18, 8
	s_addc_u32 s13, s19, 0
	s_add_u32 s14, s16, 8
	s_addc_u32 s15, s17, 0
	v_dual_mov_b32 v5, v2 :: v_dual_mov_b32 v4, v1
	s_mov_b64 s[22:23], 1
	s_waitcnt lgkmcnt(0)
	s_add_u32 s20, s2, 8
	s_addc_u32 s21, s3, 0
.LBB0_2:                                ; =>This Inner Loop Header: Depth=1
	s_load_b64 s[24:25], s[20:21], 0x0
                                        ; implicit-def: $vgpr6_vgpr7
	s_mov_b32 s2, exec_lo
	s_waitcnt lgkmcnt(0)
	v_or_b32_e32 v9, s25, v11
	s_delay_alu instid0(VALU_DEP_1)
	v_cmpx_ne_u64_e32 0, v[8:9]
	s_xor_b32 s3, exec_lo, s2
	s_cbranch_execz .LBB0_4
; %bb.3:                                ;   in Loop: Header=BB0_2 Depth=1
	v_cvt_f32_u32_e32 v3, s24
	v_cvt_f32_u32_e32 v6, s25
	s_sub_u32 s2, 0, s24
	s_subb_u32 s26, 0, s25
	s_delay_alu instid0(VALU_DEP_1) | instskip(NEXT) | instid1(VALU_DEP_1)
	v_fmac_f32_e32 v3, 0x4f800000, v6
	v_rcp_f32_e32 v3, v3
	s_waitcnt_depctr 0xfff
	v_mul_f32_e32 v3, 0x5f7ffffc, v3
	s_delay_alu instid0(VALU_DEP_1) | instskip(NEXT) | instid1(VALU_DEP_1)
	v_mul_f32_e32 v6, 0x2f800000, v3
	v_trunc_f32_e32 v6, v6
	s_delay_alu instid0(VALU_DEP_1) | instskip(SKIP_1) | instid1(VALU_DEP_2)
	v_fmac_f32_e32 v3, 0xcf800000, v6
	v_cvt_u32_f32_e32 v6, v6
	v_cvt_u32_f32_e32 v3, v3
	s_delay_alu instid0(VALU_DEP_2) | instskip(NEXT) | instid1(VALU_DEP_2)
	v_mul_lo_u32 v7, s2, v6
	v_mul_hi_u32 v9, s2, v3
	v_mul_lo_u32 v12, s26, v3
	s_delay_alu instid0(VALU_DEP_2) | instskip(SKIP_1) | instid1(VALU_DEP_2)
	v_add_nc_u32_e32 v7, v9, v7
	v_mul_lo_u32 v9, s2, v3
	v_add_nc_u32_e32 v7, v7, v12
	s_delay_alu instid0(VALU_DEP_2) | instskip(NEXT) | instid1(VALU_DEP_2)
	v_mul_hi_u32 v12, v3, v9
	v_mul_lo_u32 v13, v3, v7
	v_mul_hi_u32 v14, v3, v7
	v_mul_hi_u32 v15, v6, v9
	v_mul_lo_u32 v9, v6, v9
	v_mul_hi_u32 v16, v6, v7
	v_mul_lo_u32 v7, v6, v7
	v_add_co_u32 v12, vcc_lo, v12, v13
	v_add_co_ci_u32_e32 v13, vcc_lo, 0, v14, vcc_lo
	s_delay_alu instid0(VALU_DEP_2) | instskip(NEXT) | instid1(VALU_DEP_2)
	v_add_co_u32 v9, vcc_lo, v12, v9
	v_add_co_ci_u32_e32 v9, vcc_lo, v13, v15, vcc_lo
	v_add_co_ci_u32_e32 v12, vcc_lo, 0, v16, vcc_lo
	s_delay_alu instid0(VALU_DEP_2) | instskip(NEXT) | instid1(VALU_DEP_2)
	v_add_co_u32 v7, vcc_lo, v9, v7
	v_add_co_ci_u32_e32 v9, vcc_lo, 0, v12, vcc_lo
	s_delay_alu instid0(VALU_DEP_2) | instskip(NEXT) | instid1(VALU_DEP_2)
	v_add_co_u32 v3, vcc_lo, v3, v7
	v_add_co_ci_u32_e32 v6, vcc_lo, v6, v9, vcc_lo
	s_delay_alu instid0(VALU_DEP_2) | instskip(SKIP_1) | instid1(VALU_DEP_3)
	v_mul_hi_u32 v7, s2, v3
	v_mul_lo_u32 v12, s26, v3
	v_mul_lo_u32 v9, s2, v6
	s_delay_alu instid0(VALU_DEP_1) | instskip(SKIP_1) | instid1(VALU_DEP_2)
	v_add_nc_u32_e32 v7, v7, v9
	v_mul_lo_u32 v9, s2, v3
	v_add_nc_u32_e32 v7, v7, v12
	s_delay_alu instid0(VALU_DEP_2) | instskip(NEXT) | instid1(VALU_DEP_2)
	v_mul_hi_u32 v12, v3, v9
	v_mul_lo_u32 v13, v3, v7
	v_mul_hi_u32 v14, v3, v7
	v_mul_hi_u32 v15, v6, v9
	v_mul_lo_u32 v9, v6, v9
	v_mul_hi_u32 v16, v6, v7
	v_mul_lo_u32 v7, v6, v7
	v_add_co_u32 v12, vcc_lo, v12, v13
	v_add_co_ci_u32_e32 v13, vcc_lo, 0, v14, vcc_lo
	s_delay_alu instid0(VALU_DEP_2) | instskip(NEXT) | instid1(VALU_DEP_2)
	v_add_co_u32 v9, vcc_lo, v12, v9
	v_add_co_ci_u32_e32 v9, vcc_lo, v13, v15, vcc_lo
	v_add_co_ci_u32_e32 v12, vcc_lo, 0, v16, vcc_lo
	s_delay_alu instid0(VALU_DEP_2) | instskip(NEXT) | instid1(VALU_DEP_2)
	v_add_co_u32 v7, vcc_lo, v9, v7
	v_add_co_ci_u32_e32 v9, vcc_lo, 0, v12, vcc_lo
	s_delay_alu instid0(VALU_DEP_2) | instskip(NEXT) | instid1(VALU_DEP_2)
	v_add_co_u32 v3, vcc_lo, v3, v7
	v_add_co_ci_u32_e32 v9, vcc_lo, v6, v9, vcc_lo
	s_delay_alu instid0(VALU_DEP_2) | instskip(SKIP_1) | instid1(VALU_DEP_3)
	v_mul_hi_u32 v16, v10, v3
	v_mad_u64_u32 v[12:13], null, v11, v3, 0
	v_mad_u64_u32 v[6:7], null, v10, v9, 0
	v_mad_u64_u32 v[14:15], null, v11, v9, 0
	s_delay_alu instid0(VALU_DEP_2) | instskip(NEXT) | instid1(VALU_DEP_3)
	v_add_co_u32 v3, vcc_lo, v16, v6
	v_add_co_ci_u32_e32 v6, vcc_lo, 0, v7, vcc_lo
	s_delay_alu instid0(VALU_DEP_2) | instskip(NEXT) | instid1(VALU_DEP_2)
	v_add_co_u32 v3, vcc_lo, v3, v12
	v_add_co_ci_u32_e32 v3, vcc_lo, v6, v13, vcc_lo
	v_add_co_ci_u32_e32 v6, vcc_lo, 0, v15, vcc_lo
	s_delay_alu instid0(VALU_DEP_2) | instskip(NEXT) | instid1(VALU_DEP_2)
	v_add_co_u32 v3, vcc_lo, v3, v14
	v_add_co_ci_u32_e32 v9, vcc_lo, 0, v6, vcc_lo
	s_delay_alu instid0(VALU_DEP_2) | instskip(SKIP_1) | instid1(VALU_DEP_3)
	v_mul_lo_u32 v12, s25, v3
	v_mad_u64_u32 v[6:7], null, s24, v3, 0
	v_mul_lo_u32 v13, s24, v9
	s_delay_alu instid0(VALU_DEP_2) | instskip(NEXT) | instid1(VALU_DEP_2)
	v_sub_co_u32 v6, vcc_lo, v10, v6
	v_add3_u32 v7, v7, v13, v12
	s_delay_alu instid0(VALU_DEP_1) | instskip(NEXT) | instid1(VALU_DEP_1)
	v_sub_nc_u32_e32 v12, v11, v7
	v_subrev_co_ci_u32_e64 v12, s2, s25, v12, vcc_lo
	v_add_co_u32 v13, s2, v3, 2
	s_delay_alu instid0(VALU_DEP_1) | instskip(SKIP_3) | instid1(VALU_DEP_3)
	v_add_co_ci_u32_e64 v14, s2, 0, v9, s2
	v_sub_co_u32 v15, s2, v6, s24
	v_sub_co_ci_u32_e32 v7, vcc_lo, v11, v7, vcc_lo
	v_subrev_co_ci_u32_e64 v12, s2, 0, v12, s2
	v_cmp_le_u32_e32 vcc_lo, s24, v15
	s_delay_alu instid0(VALU_DEP_3) | instskip(SKIP_1) | instid1(VALU_DEP_4)
	v_cmp_eq_u32_e64 s2, s25, v7
	v_cndmask_b32_e64 v15, 0, -1, vcc_lo
	v_cmp_le_u32_e32 vcc_lo, s25, v12
	v_cndmask_b32_e64 v16, 0, -1, vcc_lo
	v_cmp_le_u32_e32 vcc_lo, s24, v6
	;; [unrolled: 2-line block ×3, first 2 shown]
	v_cndmask_b32_e64 v17, 0, -1, vcc_lo
	v_cmp_eq_u32_e32 vcc_lo, s25, v12
	s_delay_alu instid0(VALU_DEP_2) | instskip(SKIP_3) | instid1(VALU_DEP_3)
	v_cndmask_b32_e64 v6, v17, v6, s2
	v_cndmask_b32_e32 v12, v16, v15, vcc_lo
	v_add_co_u32 v15, vcc_lo, v3, 1
	v_add_co_ci_u32_e32 v16, vcc_lo, 0, v9, vcc_lo
	v_cmp_ne_u32_e32 vcc_lo, 0, v12
	s_delay_alu instid0(VALU_DEP_2) | instskip(SKIP_1) | instid1(VALU_DEP_2)
	v_dual_cndmask_b32 v7, v16, v14 :: v_dual_cndmask_b32 v12, v15, v13
	v_cmp_ne_u32_e32 vcc_lo, 0, v6
	v_dual_cndmask_b32 v6, v3, v12 :: v_dual_cndmask_b32 v7, v9, v7
.LBB0_4:                                ;   in Loop: Header=BB0_2 Depth=1
	s_and_not1_saveexec_b32 s2, s3
	s_cbranch_execz .LBB0_6
; %bb.5:                                ;   in Loop: Header=BB0_2 Depth=1
	v_cvt_f32_u32_e32 v3, s24
	s_sub_i32 s3, 0, s24
	s_delay_alu instid0(VALU_DEP_1) | instskip(SKIP_2) | instid1(VALU_DEP_1)
	v_rcp_iflag_f32_e32 v3, v3
	s_waitcnt_depctr 0xfff
	v_mul_f32_e32 v3, 0x4f7ffffe, v3
	v_cvt_u32_f32_e32 v3, v3
	s_delay_alu instid0(VALU_DEP_1) | instskip(NEXT) | instid1(VALU_DEP_1)
	v_mul_lo_u32 v6, s3, v3
	v_mul_hi_u32 v6, v3, v6
	s_delay_alu instid0(VALU_DEP_1) | instskip(NEXT) | instid1(VALU_DEP_1)
	v_add_nc_u32_e32 v3, v3, v6
	v_mul_hi_u32 v3, v10, v3
	s_delay_alu instid0(VALU_DEP_1) | instskip(SKIP_1) | instid1(VALU_DEP_2)
	v_mul_lo_u32 v6, v3, s24
	v_add_nc_u32_e32 v7, 1, v3
	v_sub_nc_u32_e32 v6, v10, v6
	s_delay_alu instid0(VALU_DEP_1) | instskip(SKIP_1) | instid1(VALU_DEP_2)
	v_subrev_nc_u32_e32 v9, s24, v6
	v_cmp_le_u32_e32 vcc_lo, s24, v6
	v_dual_cndmask_b32 v6, v6, v9 :: v_dual_cndmask_b32 v3, v3, v7
	s_delay_alu instid0(VALU_DEP_1) | instskip(NEXT) | instid1(VALU_DEP_2)
	v_cmp_le_u32_e32 vcc_lo, s24, v6
	v_add_nc_u32_e32 v7, 1, v3
	s_delay_alu instid0(VALU_DEP_1)
	v_dual_cndmask_b32 v6, v3, v7 :: v_dual_mov_b32 v7, v8
.LBB0_6:                                ;   in Loop: Header=BB0_2 Depth=1
	s_or_b32 exec_lo, exec_lo, s2
	s_delay_alu instid0(VALU_DEP_1) | instskip(NEXT) | instid1(VALU_DEP_2)
	v_mul_lo_u32 v3, v7, s24
	v_mul_lo_u32 v9, v6, s25
	s_load_b64 s[2:3], s[14:15], 0x0
	v_mad_u64_u32 v[12:13], null, v6, s24, 0
	s_load_b64 s[24:25], s[12:13], 0x0
	s_add_u32 s22, s22, 1
	s_addc_u32 s23, s23, 0
	s_add_u32 s12, s12, 8
	s_addc_u32 s13, s13, 0
	s_add_u32 s14, s14, 8
	s_delay_alu instid0(VALU_DEP_1) | instskip(SKIP_3) | instid1(VALU_DEP_2)
	v_add3_u32 v3, v13, v9, v3
	v_sub_co_u32 v13, vcc_lo, v10, v12
	s_addc_u32 s15, s15, 0
	s_add_u32 s20, s20, 8
	v_sub_co_ci_u32_e32 v3, vcc_lo, v11, v3, vcc_lo
	s_addc_u32 s21, s21, 0
	s_waitcnt lgkmcnt(0)
	s_delay_alu instid0(VALU_DEP_1)
	v_mul_lo_u32 v14, s2, v3
	v_mul_lo_u32 v15, s3, v13
	v_mad_u64_u32 v[9:10], null, s2, v13, v[1:2]
	v_mul_lo_u32 v3, s24, v3
	v_mul_lo_u32 v16, s25, v13
	v_mad_u64_u32 v[11:12], null, s24, v13, v[4:5]
	v_cmp_ge_u64_e64 s2, s[22:23], s[6:7]
	v_add3_u32 v2, v15, v10, v14
	s_delay_alu instid0(VALU_DEP_3) | instskip(NEXT) | instid1(VALU_DEP_4)
	v_dual_mov_b32 v1, v9 :: v_dual_mov_b32 v4, v11
	v_add3_u32 v5, v16, v12, v3
	s_delay_alu instid0(VALU_DEP_4)
	s_and_b32 vcc_lo, exec_lo, s2
	s_cbranch_vccnz .LBB0_9
; %bb.7:                                ;   in Loop: Header=BB0_2 Depth=1
	v_dual_mov_b32 v11, v7 :: v_dual_mov_b32 v10, v6
	s_branch .LBB0_2
.LBB0_8:
	v_dual_mov_b32 v5, v2 :: v_dual_mov_b32 v4, v1
	v_dual_mov_b32 v6, v10 :: v_dual_mov_b32 v7, v11
.LBB0_9:
	s_load_b64 s[2:3], s[0:1], 0x28
	v_mul_hi_u32 v18, 0x4bda130, v0
	s_lshl_b64 s[6:7], s[6:7], 3
                                        ; implicit-def: $vgpr8
	s_waitcnt lgkmcnt(0)
	v_cmp_gt_u64_e64 s0, s[2:3], v[6:7]
	v_cmp_le_u64_e32 vcc_lo, s[2:3], v[6:7]
	s_add_u32 s2, s18, s6
	s_addc_u32 s3, s19, s7
	s_and_saveexec_b32 s1, vcc_lo
	s_delay_alu instid0(SALU_CYCLE_1)
	s_xor_b32 s1, exec_lo, s1
; %bb.10:
	v_mul_u32_u24_e32 v1, 54, v18
                                        ; implicit-def: $vgpr18
	s_delay_alu instid0(VALU_DEP_1)
	v_sub_nc_u32_e32 v8, v0, v1
                                        ; implicit-def: $vgpr0
                                        ; implicit-def: $vgpr1_vgpr2
; %bb.11:
	s_or_saveexec_b32 s1, s1
	s_load_b64 s[2:3], s[2:3], 0x0
                                        ; implicit-def: $vgpr12
                                        ; implicit-def: $vgpr11
                                        ; implicit-def: $vgpr54
                                        ; implicit-def: $vgpr43
                                        ; implicit-def: $vgpr49
                                        ; implicit-def: $vgpr45
                                        ; implicit-def: $vgpr35
                                        ; implicit-def: $vgpr16
                                        ; implicit-def: $vgpr55
                                        ; implicit-def: $vgpr39
                                        ; implicit-def: $vgpr52
                                        ; implicit-def: $vgpr44
                                        ; implicit-def: $vgpr40
                                        ; implicit-def: $vgpr15
                                        ; implicit-def: $vgpr53
                                        ; implicit-def: $vgpr13
                                        ; implicit-def: $vgpr48
                                        ; implicit-def: $vgpr34
                                        ; implicit-def: $vgpr42
                                        ; implicit-def: $vgpr22
                                        ; implicit-def: $vgpr51
                                        ; implicit-def: $vgpr32
                                        ; implicit-def: $vgpr50
                                        ; implicit-def: $vgpr36
                                        ; implicit-def: $vgpr14
                                        ; implicit-def: $vgpr3
                                        ; implicit-def: $vgpr47
                                        ; implicit-def: $vgpr17
                                        ; implicit-def: $vgpr46
                                        ; implicit-def: $vgpr21
                                        ; implicit-def: $vgpr10
                                        ; implicit-def: $vgpr9
                                        ; implicit-def: $vgpr37
                                        ; implicit-def: $vgpr38
                                        ; implicit-def: $vgpr41
                                        ; implicit-def: $vgpr33
	s_xor_b32 exec_lo, exec_lo, s1
	s_cbranch_execz .LBB0_15
; %bb.12:
	s_add_u32 s6, s16, s6
	s_addc_u32 s7, s17, s7
	v_lshlrev_b64 v[1:2], 2, v[1:2]
	s_load_b64 s[6:7], s[6:7], 0x0
                                        ; implicit-def: $vgpr33
                                        ; implicit-def: $vgpr41
                                        ; implicit-def: $vgpr38
                                        ; implicit-def: $vgpr37
	s_waitcnt lgkmcnt(0)
	v_mul_lo_u32 v3, s7, v6
	v_mul_lo_u32 v10, s6, v7
	v_mad_u64_u32 v[8:9], null, s6, v6, 0
	s_mov_b32 s6, exec_lo
	s_delay_alu instid0(VALU_DEP_1) | instskip(SKIP_1) | instid1(VALU_DEP_2)
	v_add3_u32 v9, v9, v10, v3
	v_mul_u32_u24_e32 v3, 54, v18
	v_lshlrev_b64 v[9:10], 2, v[8:9]
	s_delay_alu instid0(VALU_DEP_2) | instskip(NEXT) | instid1(VALU_DEP_2)
	v_sub_nc_u32_e32 v8, v0, v3
	v_add_co_u32 v0, vcc_lo, s8, v9
	s_delay_alu instid0(VALU_DEP_3) | instskip(NEXT) | instid1(VALU_DEP_3)
	v_add_co_ci_u32_e32 v3, vcc_lo, s9, v10, vcc_lo
	v_lshlrev_b32_e32 v9, 2, v8
	s_delay_alu instid0(VALU_DEP_3) | instskip(NEXT) | instid1(VALU_DEP_3)
	v_add_co_u32 v0, vcc_lo, v0, v1
	v_add_co_ci_u32_e32 v1, vcc_lo, v3, v2, vcc_lo
                                        ; implicit-def: $vgpr10
	s_delay_alu instid0(VALU_DEP_2) | instskip(NEXT) | instid1(VALU_DEP_2)
	v_add_co_u32 v0, vcc_lo, v0, v9
	v_add_co_ci_u32_e32 v1, vcc_lo, 0, v1, vcc_lo
                                        ; implicit-def: $vgpr9
	s_clause 0xe
	global_load_b32 v39, v[0:1], off offset:1368
	global_load_b32 v13, v[0:1], off offset:1584
	global_load_b32 v11, v[0:1], off
	global_load_b32 v16, v[0:1], off offset:216
	global_load_b32 v15, v[0:1], off offset:432
	;; [unrolled: 1-line block ×12, first 2 shown]
	v_cmpx_gt_u32_e32 18, v8
	s_cbranch_execz .LBB0_14
; %bb.13:
	s_clause 0x2
	global_load_b32 v9, v[0:1], off offset:1080
	global_load_b32 v33, v[0:1], off offset:2232
	;; [unrolled: 1-line block ×3, first 2 shown]
	s_waitcnt vmcnt(2)
	v_lshrrev_b32_e32 v10, 16, v9
	s_waitcnt vmcnt(1)
	v_lshrrev_b32_e32 v41, 16, v33
	;; [unrolled: 2-line block ×3, first 2 shown]
.LBB0_14:
	s_or_b32 exec_lo, exec_lo, s6
	s_waitcnt vmcnt(12)
	v_lshrrev_b32_e32 v12, 16, v11
	s_waitcnt vmcnt(7)
	v_lshrrev_b32_e32 v54, 16, v43
	;; [unrolled: 2-line block ×3, first 2 shown]
	v_lshrrev_b32_e32 v35, 16, v16
	v_lshrrev_b32_e32 v55, 16, v39
	;; [unrolled: 1-line block ×10, first 2 shown]
	s_waitcnt vmcnt(0)
	v_lshrrev_b32_e32 v47, 16, v17
	v_lshrrev_b32_e32 v46, 16, v21
.LBB0_15:
	s_or_b32 exec_lo, exec_lo, s1
	v_add_f16_e32 v0, v43, v45
	v_add_f16_e32 v1, v11, v43
	v_sub_f16_e32 v2, v54, v49
	v_add_f16_e32 v18, v39, v44
	v_sub_f16_e32 v19, v55, v52
	v_fmac_f16_e32 v11, -0.5, v0
	v_add_f16_e32 v0, v16, v39
	v_add_f16_e32 v20, v9, v33
	v_fmac_f16_e32 v16, -0.5, v18
	v_add_f16_e32 v18, v32, v36
	v_fmamk_f16 v23, v2, 0xbaee, v11
	v_fmac_f16_e32 v11, 0x3aee, v2
	v_add_f16_e32 v24, v0, v44
	v_add_f16_e32 v0, v13, v34
	;; [unrolled: 1-line block ×3, first 2 shown]
	v_fmamk_f16 v25, v19, 0xbaee, v16
	v_fmac_f16_e32 v16, 0x3aee, v19
	v_sub_f16_e32 v19, v47, v46
	v_fmac_f16_e32 v15, -0.5, v0
	v_sub_f16_e32 v0, v53, v48
	v_add_f16_e32 v26, v2, v34
	v_add_f16_e32 v2, v22, v32
	v_fmac_f16_e32 v22, -0.5, v18
	v_sub_f16_e32 v18, v51, v50
	v_fmamk_f16 v27, v0, 0xbaee, v15
	v_fmac_f16_e32 v15, 0x3aee, v0
	v_add_f16_e32 v0, v17, v21
	v_add_f16_e32 v28, v2, v36
	v_fmamk_f16 v29, v18, 0xbaee, v22
	v_fmac_f16_e32 v22, 0x3aee, v18
	v_add_f16_e32 v18, v38, v33
	v_add_f16_e32 v2, v3, v17
	v_fmac_f16_e32 v3, -0.5, v0
	v_sub_f16_e32 v30, v41, v37
	v_add_f16_e32 v1, v1, v45
	v_fmac_f16_e32 v9, -0.5, v18
	v_add_f16_e32 v0, v2, v21
	v_fmamk_f16 v18, v19, 0xbaee, v3
	v_mad_u32_u24 v2, v8, 6, 0
	v_fmac_f16_e32 v3, 0x3aee, v19
	v_add_f16_e32 v19, v38, v20
	v_fmamk_f16 v20, v30, 0xbaee, v9
	v_fmac_f16_e32 v9, 0x3aee, v30
	v_cmp_gt_u32_e32 vcc_lo, 18, v8
	ds_store_b16 v2, v1
	ds_store_b16 v2, v23 offset:2
	ds_store_b16 v2, v11 offset:4
	;; [unrolled: 1-line block ×14, first 2 shown]
	s_and_saveexec_b32 s1, vcc_lo
	s_cbranch_execz .LBB0_17
; %bb.16:
	ds_store_b16 v2, v19 offset:1620
	ds_store_b16 v2, v20 offset:1622
	;; [unrolled: 1-line block ×3, first 2 shown]
.LBB0_17:
	s_or_b32 exec_lo, exec_lo, s1
	v_lshlrev_b32_e32 v1, 2, v8
	s_waitcnt lgkmcnt(0)
	s_barrier
	buffer_gl0_inv
	v_cmp_gt_u32_e64 s1, 36, v8
	v_sub_nc_u32_e32 v11, v2, v1
	ds_load_u16 v15, v11
	ds_load_u16 v27, v11 offset:1152
	ds_load_u16 v22, v11 offset:972
	;; [unrolled: 1-line block ×11, first 2 shown]
	s_and_saveexec_b32 s6, s1
	s_cbranch_execz .LBB0_19
; %bb.18:
	ds_load_u16 v0, v11 offset:216
	ds_load_u16 v18, v11 offset:504
	;; [unrolled: 1-line block ×6, first 2 shown]
.LBB0_19:
	s_or_b32 exec_lo, exec_lo, s6
	v_add_f16_e32 v1, v54, v49
	v_sub_f16_e32 v43, v43, v45
	v_add_f16_e32 v45, v55, v52
	v_add_f16_e32 v54, v12, v54
	v_sub_f16_e32 v39, v39, v44
	v_fmac_f16_e32 v12, -0.5, v1
	v_add_f16_e32 v1, v35, v55
	v_fmac_f16_e32 v35, -0.5, v45
	v_add_f16_e32 v44, v54, v49
	v_sub_f16_e32 v32, v32, v36
	v_fmamk_f16 v45, v43, 0x3aee, v12
	v_fmac_f16_e32 v12, 0xbaee, v43
	v_add_f16_e32 v43, v1, v52
	v_add_f16_e32 v1, v53, v48
	v_fmamk_f16 v49, v39, 0x3aee, v35
	v_fmac_f16_e32 v35, 0xbaee, v39
	v_add_f16_e32 v39, v51, v50
	v_add_f16_e32 v52, v40, v53
	v_fmac_f16_e32 v40, -0.5, v1
	v_sub_f16_e32 v1, v13, v34
	v_add_f16_e32 v34, v42, v51
	v_fmac_f16_e32 v42, -0.5, v39
	v_add_f16_e32 v13, v52, v48
	v_sub_f16_e32 v17, v17, v21
	v_fmamk_f16 v36, v1, 0x3aee, v40
	v_fmac_f16_e32 v40, 0xbaee, v1
	v_add_f16_e32 v1, v47, v46
	v_fmamk_f16 v48, v32, 0x3aee, v42
	v_fmac_f16_e32 v42, 0xbaee, v32
	v_add_f16_e32 v32, v37, v41
	v_add_f16_e32 v39, v34, v50
	v_add_f16_e32 v34, v14, v47
	v_fmac_f16_e32 v14, -0.5, v1
	v_add_f16_e32 v21, v10, v41
	v_fmac_f16_e32 v10, -0.5, v32
	v_sub_f16_e32 v38, v33, v38
	v_add_f16_e32 v1, v34, v46
	v_fmamk_f16 v32, v17, 0x3aee, v14
	v_fmac_f16_e32 v14, 0xbaee, v17
	v_add_f16_e32 v33, v37, v21
	v_fmamk_f16 v34, v38, 0x3aee, v10
	v_fmac_f16_e32 v10, 0xbaee, v38
	s_waitcnt lgkmcnt(0)
	s_barrier
	buffer_gl0_inv
	ds_store_b16 v2, v44
	ds_store_b16 v2, v45 offset:2
	ds_store_b16 v2, v12 offset:4
	;; [unrolled: 1-line block ×14, first 2 shown]
	s_and_saveexec_b32 s6, vcc_lo
	s_cbranch_execz .LBB0_21
; %bb.20:
	ds_store_b16 v2, v33 offset:1620
	ds_store_b16 v2, v34 offset:1622
	;; [unrolled: 1-line block ×3, first 2 shown]
.LBB0_21:
	s_or_b32 exec_lo, exec_lo, s6
	s_waitcnt lgkmcnt(0)
	s_barrier
	buffer_gl0_inv
	ds_load_u16 v21, v11
	ds_load_u16 v41, v11 offset:1152
	ds_load_u16 v35, v11 offset:972
	;; [unrolled: 1-line block ×11, first 2 shown]
	s_and_saveexec_b32 s6, s1
	s_cbranch_execz .LBB0_23
; %bb.22:
	ds_load_u16 v1, v11 offset:216
	ds_load_u16 v32, v11 offset:504
	;; [unrolled: 1-line block ×6, first 2 shown]
.LBB0_23:
	s_or_b32 exec_lo, exec_lo, s6
	v_and_b32_e32 v2, 0xff, v8
	v_add_nc_u32_e32 v12, 54, v8
	s_delay_alu instid0(VALU_DEP_2) | instskip(NEXT) | instid1(VALU_DEP_2)
	v_mul_lo_u16 v13, 0xab, v2
	v_and_b32_e32 v42, 0xff, v12
	s_delay_alu instid0(VALU_DEP_2) | instskip(SKIP_1) | instid1(VALU_DEP_3)
	v_lshrrev_b16 v40, 9, v13
	v_add_nc_u32_e32 v13, 0x6c, v8
	v_mul_lo_u16 v42, 0xab, v42
	s_delay_alu instid0(VALU_DEP_3) | instskip(NEXT) | instid1(VALU_DEP_3)
	v_mul_lo_u16 v47, v40, 3
	v_and_b32_e32 v48, 0xff, v13
	s_delay_alu instid0(VALU_DEP_3) | instskip(SKIP_1) | instid1(VALU_DEP_4)
	v_lshrrev_b16 v42, 9, v42
	v_and_b32_e32 v40, 0xffff, v40
	v_sub_nc_u16 v47, v8, v47
	s_delay_alu instid0(VALU_DEP_4) | instskip(NEXT) | instid1(VALU_DEP_4)
	v_mul_lo_u16 v48, 0xab, v48
	v_mul_lo_u16 v49, v42, 3
	v_and_b32_e32 v42, 0xffff, v42
	v_mul_u32_u24_e32 v40, 36, v40
	v_and_b32_e32 v47, 0xff, v47
	v_lshrrev_b16 v48, 9, v48
	v_sub_nc_u16 v49, v12, v49
	s_delay_alu instid0(VALU_DEP_3) | instskip(NEXT) | instid1(VALU_DEP_3)
	v_mul_u32_u24_e32 v50, 5, v47
	v_mul_lo_u16 v51, v48, 3
	s_delay_alu instid0(VALU_DEP_3) | instskip(SKIP_1) | instid1(VALU_DEP_4)
	v_and_b32_e32 v49, 0xff, v49
	v_lshlrev_b32_e32 v47, 1, v47
	v_lshlrev_b32_e32 v50, 2, v50
	s_delay_alu instid0(VALU_DEP_4)
	v_sub_nc_u16 v51, v13, v51
	s_clause 0x1
	global_load_b128 v[52:55], v50, s[4:5]
	global_load_b32 v64, v50, s[4:5] offset:16
	v_and_b32_e32 v51, 0xff, v51
	v_mul_u32_u24_e32 v50, 5, v49
	v_lshlrev_b32_e32 v49, 1, v49
	s_delay_alu instid0(VALU_DEP_3) | instskip(NEXT) | instid1(VALU_DEP_3)
	v_mul_u32_u24_e32 v56, 5, v51
	v_lshlrev_b32_e32 v50, 2, v50
	s_delay_alu instid0(VALU_DEP_2)
	v_lshlrev_b32_e32 v65, 2, v56
	s_clause 0x3
	global_load_b128 v[56:59], v50, s[4:5]
	global_load_b32 v66, v50, s[4:5] offset:16
	global_load_b128 v[60:63], v65, s[4:5]
	global_load_b32 v65, v65, s[4:5] offset:16
	v_mul_u32_u24_e32 v50, 36, v42
	v_and_b32_e32 v42, 0xffff, v48
	v_add3_u32 v48, 0, v40, v47
	v_lshlrev_b32_e32 v40, 1, v51
	s_waitcnt vmcnt(0) lgkmcnt(0)
	v_add3_u32 v47, 0, v50, v49
	s_barrier
	buffer_gl0_inv
	v_lshrrev_b32_e32 v50, 16, v52
	v_lshrrev_b32_e32 v51, 16, v53
	;; [unrolled: 1-line block ×5, first 2 shown]
	v_mul_f16_e32 v49, v46, v50
	v_mul_f16_e32 v70, v31, v50
	;; [unrolled: 1-line block ×10, first 2 shown]
	v_lshrrev_b32_e32 v74, 16, v56
	v_lshrrev_b32_e32 v75, 16, v57
	;; [unrolled: 1-line block ×8, first 2 shown]
	v_fmac_f16_e32 v49, v31, v52
	v_fma_f16 v46, v46, v52, -v70
	v_fmac_f16_e32 v50, v29, v53
	v_fma_f16 v52, v44, v53, -v71
	;; [unrolled: 2-line block ×5, first 2 shown]
	v_mul_f16_e32 v27, v38, v74
	v_mul_f16_e32 v45, v25, v74
	v_mul_f16_e32 v30, v36, v75
	v_mul_f16_e32 v67, v35, v76
	v_mul_f16_e32 v68, v22, v76
	v_mul_f16_e32 v31, v39, v77
	v_mul_f16_e32 v70, v37, v78
	v_mul_f16_e32 v71, v24, v78
	v_mul_f16_e32 v53, v32, v79
	v_mul_f16_e32 v55, v33, v81
	v_mul_f16_e32 v76, v19, v81
	v_mul_f16_e32 v54, v10, v83
	v_mul_f16_e32 v78, v9, v83
	v_lshrrev_b32_e32 v80, 16, v61
	v_lshrrev_b32_e32 v82, 16, v63
	v_mul_f16_e32 v64, v23, v75
	v_mul_f16_e32 v69, v26, v77
	;; [unrolled: 1-line block ×3, first 2 shown]
	v_fmac_f16_e32 v27, v25, v56
	v_fma_f16 v25, v38, v56, -v45
	v_fmac_f16_e32 v30, v23, v57
	v_fmac_f16_e32 v67, v22, v58
	v_fma_f16 v38, v35, v58, -v68
	v_fmac_f16_e32 v31, v26, v59
	;; [unrolled: 3-line block ×4, first 2 shown]
	v_fma_f16 v33, v10, v65, -v78
	v_add_f16_e32 v9, v15, v50
	v_add_f16_e32 v10, v50, v51
	;; [unrolled: 1-line block ×5, first 2 shown]
	v_mul_f16_e32 v28, v14, v80
	v_mul_f16_e32 v75, v3, v80
	;; [unrolled: 1-line block ×4, first 2 shown]
	v_fma_f16 v45, v36, v57, -v64
	v_fma_f16 v23, v39, v59, -v69
	;; [unrolled: 1-line block ×3, first 2 shown]
	v_add_f16_e32 v9, v9, v51
	v_fmac_f16_e32 v15, -0.5, v10
	v_add_f16_e32 v10, v18, v73
	v_fmac_f16_e32 v49, -0.5, v19
	v_fma_f16 v32, -0.5, v24, v46
	v_add_f16_e32 v18, v16, v30
	v_add_f16_e32 v19, v30, v31
	;; [unrolled: 1-line block ×5, first 2 shown]
	v_fmac_f16_e32 v28, v3, v61
	v_fma_f16 v36, v14, v61, -v75
	v_fmac_f16_e32 v29, v20, v63
	v_fma_f16 v3, v34, v63, -v77
	v_sub_f16_e32 v14, v52, v41
	v_sub_f16_e32 v20, v44, v43
	;; [unrolled: 1-line block ×4, first 2 shown]
	v_add_f16_e32 v57, v67, v70
	v_sub_f16_e32 v60, v67, v70
	v_add_f16_e32 v63, v55, v54
	v_sub_f16_e32 v66, v55, v54
	;; [unrolled: 2-line block ×3, first 2 shown]
	v_add_f16_e32 v9, v18, v31
	v_fmac_f16_e32 v16, -0.5, v19
	v_add_f16_e32 v10, v24, v70
	v_fma_f16 v24, -0.5, v59, v25
	v_fma_f16 v18, -0.5, v65, v35
	v_sub_f16_e32 v58, v38, v22
	v_add_f16_e32 v61, v28, v29
	v_sub_f16_e32 v64, v37, v33
	v_fmamk_f16 v67, v14, 0xbaee, v15
	v_fmac_f16_e32 v15, 0x3aee, v14
	v_fmamk_f16 v39, v20, 0xbaee, v49
	v_fmac_f16_e32 v49, 0x3aee, v20
	v_fmamk_f16 v56, v26, 0x3aee, v32
	v_fmac_f16_e32 v32, 0xbaee, v26
	v_fmac_f16_e32 v27, -0.5, v57
	v_fma_f16 v14, -0.5, v63, v53
	v_fmamk_f16 v65, v34, 0xbaee, v16
	v_fmac_f16_e32 v16, 0x3aee, v34
	v_fmamk_f16 v34, v60, 0x3aee, v24
	v_fmac_f16_e32 v24, 0xbaee, v60
	;; [unrolled: 2-line block ×3, first 2 shown]
	v_sub_f16_e32 v62, v36, v3
	v_fma_f16 v57, -0.5, v61, v0
	v_mul_f16_e32 v63, 0xbaee, v32
	v_fmamk_f16 v26, v58, 0xbaee, v27
	v_fmac_f16_e32 v27, 0x3aee, v58
	v_add_f16_e32 v70, v9, v10
	v_sub_f16_e32 v71, v9, v10
	v_fmamk_f16 v19, v64, 0xbaee, v14
	v_fmac_f16_e32 v14, 0x3aee, v64
	v_mul_f16_e32 v9, 0xbaee, v34
	v_mul_f16_e32 v10, 0xbaee, v24
	;; [unrolled: 1-line block ×5, first 2 shown]
	v_fmamk_f16 v58, v62, 0xbaee, v57
	v_fmac_f16_e32 v57, 0x3aee, v62
	v_fmac_f16_e32 v63, -0.5, v49
	v_fmac_f16_e32 v9, 0.5, v26
	v_fmac_f16_e32 v10, -0.5, v27
	v_fmac_f16_e32 v59, 0.5, v19
	;; [unrolled: 2-line block ×3, first 2 shown]
	v_add_f16_e32 v64, v15, v63
	v_sub_f16_e32 v15, v15, v63
	v_add_f16_e32 v63, v65, v9
	v_add_f16_e32 v66, v16, v10
	v_sub_f16_e32 v65, v65, v9
	v_sub_f16_e32 v16, v16, v10
	;; [unrolled: 1-line block ×4, first 2 shown]
	v_add_f16_e32 v62, v67, v61
	v_sub_f16_e32 v61, v67, v61
	ds_store_b16 v48, v68
	ds_store_b16 v48, v62 offset:6
	ds_store_b16 v48, v64 offset:12
	;; [unrolled: 1-line block ×5, first 2 shown]
	ds_store_b16 v47, v70
	ds_store_b16 v47, v63 offset:6
	ds_store_b16 v47, v66 offset:12
	;; [unrolled: 1-line block ×5, first 2 shown]
	s_and_saveexec_b32 s6, s1
	s_cbranch_execz .LBB0_25
; %bb.24:
	v_add_f16_e32 v0, v0, v28
	v_add_f16_e32 v15, v53, v55
	v_mul_u32_u24_e32 v16, 36, v42
	v_add_f16_e32 v55, v57, v60
	s_delay_alu instid0(VALU_DEP_4) | instskip(NEXT) | instid1(VALU_DEP_4)
	v_add_f16_e32 v0, v0, v29
	v_add_f16_e32 v15, v15, v54
	s_delay_alu instid0(VALU_DEP_4) | instskip(SKIP_1) | instid1(VALU_DEP_3)
	v_add3_u32 v16, 0, v16, v40
	v_add_f16_e32 v54, v58, v59
	v_add_f16_e32 v53, v0, v15
	v_sub_f16_e32 v0, v0, v15
	ds_store_b16 v16, v53
	ds_store_b16 v16, v54 offset:6
	ds_store_b16 v16, v55 offset:12
	;; [unrolled: 1-line block ×5, first 2 shown]
.LBB0_25:
	s_or_b32 exec_lo, exec_lo, s6
	v_add_f16_e32 v0, v52, v41
	v_add_f16_e32 v15, v21, v52
	v_sub_f16_e32 v16, v50, v51
	v_add_f16_e32 v44, v46, v44
	v_mul_f16_e32 v46, 0.5, v56
	v_fmac_f16_e32 v21, -0.5, v0
	v_mul_f16_e32 v0, -0.5, v32
	v_add_f16_e32 v15, v15, v41
	v_add_f16_e32 v32, v44, v43
	v_fmac_f16_e32 v46, 0x3aee, v39
	v_fmamk_f16 v39, v16, 0x3aee, v21
	v_fmac_f16_e32 v0, 0x3aee, v49
	v_fmac_f16_e32 v21, 0xbaee, v16
	v_add_f16_e32 v16, v45, v23
	v_add_f16_e32 v43, v15, v32
	v_sub_f16_e32 v50, v15, v32
	v_add_f16_e32 v15, v17, v45
	v_add_f16_e32 v49, v21, v0
	v_sub_f16_e32 v45, v21, v0
	v_add_f16_e32 v0, v25, v38
	v_fmac_f16_e32 v17, -0.5, v16
	v_sub_f16_e32 v16, v30, v31
	v_add_f16_e32 v15, v15, v23
	v_mul_f16_e32 v51, 0.5, v34
	v_add_f16_e32 v21, v0, v22
	v_add_f16_e32 v0, v36, v3
	v_fmamk_f16 v52, v16, 0x3aee, v17
	v_mul_f16_e32 v53, -0.5, v24
	v_fmac_f16_e32 v17, 0xbaee, v16
	v_add_f16_e32 v54, v15, v21
	v_fma_f16 v0, -0.5, v0, v1
	v_sub_f16_e32 v16, v28, v29
	v_mul_f16_e32 v38, 0.5, v20
	v_sub_f16_e32 v57, v15, v21
	v_lshl_add_u32 v21, v8, 1, 0
	v_add_f16_e32 v44, v39, v46
	v_sub_f16_e32 v46, v39, v46
	v_fmac_f16_e32 v51, 0x3aee, v26
	v_fmac_f16_e32 v53, 0x3aee, v27
	v_mul_f16_e32 v39, -0.5, v18
	v_fmamk_f16 v41, v16, 0x3aee, v0
	v_fmac_f16_e32 v0, 0xbaee, v16
	v_fmac_f16_e32 v38, 0x3aee, v19
	s_waitcnt lgkmcnt(0)
	s_barrier
	buffer_gl0_inv
	ds_load_u16 v30, v21 offset:324
	ds_load_u16 v28, v21 offset:432
	;; [unrolled: 1-line block ×3, first 2 shown]
	ds_load_u16 v16, v11
	ds_load_u16 v31, v11 offset:108
	ds_load_u16 v29, v11 offset:648
	;; [unrolled: 1-line block ×12, first 2 shown]
	v_fmac_f16_e32 v39, 0x3aee, v14
	v_sub_f16_e32 v14, v41, v38
	v_add_f16_e32 v55, v52, v51
	v_add_f16_e32 v56, v17, v53
	v_sub_f16_e32 v51, v52, v51
	v_sub_f16_e32 v15, v0, v39
	;; [unrolled: 1-line block ×3, first 2 shown]
	s_waitcnt lgkmcnt(0)
	s_barrier
	buffer_gl0_inv
	ds_store_b16 v48, v43
	ds_store_b16 v48, v44 offset:6
	ds_store_b16 v48, v49 offset:12
	;; [unrolled: 1-line block ×5, first 2 shown]
	ds_store_b16 v47, v54
	ds_store_b16 v47, v55 offset:6
	ds_store_b16 v47, v56 offset:12
	;; [unrolled: 1-line block ×5, first 2 shown]
	s_and_saveexec_b32 s6, s1
	s_cbranch_execz .LBB0_27
; %bb.26:
	v_add_f16_e32 v1, v1, v36
	v_add_f16_e32 v17, v35, v37
	v_mul_u32_u24_e32 v35, 36, v42
	v_add_f16_e32 v0, v0, v39
	s_delay_alu instid0(VALU_DEP_4) | instskip(NEXT) | instid1(VALU_DEP_4)
	v_add_f16_e32 v1, v1, v3
	v_add_f16_e32 v3, v17, v33
	s_delay_alu instid0(VALU_DEP_4) | instskip(SKIP_1) | instid1(VALU_DEP_3)
	v_add3_u32 v17, 0, v35, v40
	v_add_f16_e32 v35, v41, v38
	v_add_f16_e32 v33, v1, v3
	v_sub_f16_e32 v1, v1, v3
	ds_store_b16 v17, v33
	ds_store_b16 v17, v35 offset:6
	ds_store_b16 v17, v0 offset:12
	;; [unrolled: 1-line block ×5, first 2 shown]
.LBB0_27:
	s_or_b32 exec_lo, exec_lo, s6
	v_mul_lo_u16 v0, v2, 57
	s_waitcnt lgkmcnt(0)
	s_barrier
	buffer_gl0_inv
	v_lshrrev_b16 v17, 10, v0
	s_delay_alu instid0(VALU_DEP_1) | instskip(SKIP_1) | instid1(VALU_DEP_2)
	v_mul_lo_u16 v0, v17, 18
	v_and_b32_e32 v17, 0xffff, v17
	v_sub_nc_u16 v0, v8, v0
	s_delay_alu instid0(VALU_DEP_1) | instskip(NEXT) | instid1(VALU_DEP_1)
	v_and_b32_e32 v33, 0xff, v0
	v_mul_u32_u24_e32 v0, 15, v33
	s_delay_alu instid0(VALU_DEP_1)
	v_lshlrev_b32_e32 v35, 2, v0
	s_clause 0x3
	global_load_b128 v[38:41], v35, s[4:5] offset:60
	global_load_b128 v[0:3], v35, s[4:5] offset:76
	;; [unrolled: 1-line block ×3, first 2 shown]
	global_load_b96 v[46:48], v35, s[4:5] offset:108
	ds_load_u16 v49, v21 offset:324
	ds_load_u16 v50, v21 offset:432
	;; [unrolled: 1-line block ×3, first 2 shown]
	v_mul_u32_u24_e32 v35, 0x120, v17
	ds_load_u16 v17, v11
	ds_load_u16 v52, v11 offset:108
	ds_load_u16 v53, v11 offset:648
	;; [unrolled: 1-line block ×12, first 2 shown]
	s_waitcnt vmcnt(0) lgkmcnt(0)
	s_barrier
	v_or_b32_e32 v33, v35, v33
	buffer_gl0_inv
	v_lshl_add_u32 v35, v33, 1, 0
	v_lshrrev_b32_e32 v33, 16, v38
	v_lshrrev_b32_e32 v63, 16, v39
	;; [unrolled: 1-line block ×15, first 2 shown]
	v_mul_f16_e32 v76, v52, v33
	v_mul_f16_e32 v33, v31, v33
	;; [unrolled: 1-line block ×29, first 2 shown]
	v_fmac_f16_e32 v76, v31, v38
	v_fma_f16 v31, v52, v38, -v33
	v_fmac_f16_e32 v77, v32, v39
	v_fma_f16 v32, v61, v39, -v63
	;; [unrolled: 2-line block ×6, first 2 shown]
	v_fmac_f16_e32 v83, v34, v3
	v_fmac_f16_e32 v84, v25, v42
	v_fma_f16 v25, v55, v42, -v69
	v_fmac_f16_e32 v85, v24, v43
	v_fma_f16 v24, v56, v43, -v70
	v_fmac_f16_e32 v86, v23, v44
	v_fmac_f16_e32 v87, v22, v45
	v_fma_f16 v22, v58, v45, -v72
	v_fmac_f16_e32 v88, v20, v46
	v_fma_f16 v20, v59, v46, -v73
	v_fmac_f16_e32 v89, v18, v47
	v_fma_f16 v18, v60, v47, -v74
	v_fmac_f16_e32 v90, v19, v48
	v_fma_f16 v19, v62, v48, -v75
	v_fma_f16 v30, v49, v40, -v64
	v_fmac_f16_e32 v79, v28, v41
	v_fma_f16 v23, v57, v44, -v71
	v_sub_f16_e32 v26, v16, v83
	v_sub_f16_e32 v42, v38, v22
	;; [unrolled: 1-line block ×15, first 2 shown]
	v_fma_f16 v43, v77, 2.0, -v22
	v_fma_f16 v45, v32, 2.0, -v24
	;; [unrolled: 1-line block ×11, first 2 shown]
	v_add_f16_e32 v51, v26, v42
	v_add_f16_e32 v52, v22, v18
	v_sub_f16_e32 v53, v24, v27
	v_add_f16_e32 v18, v28, v20
	v_add_f16_e32 v19, v33, v19
	v_fma_f16 v16, v16, 2.0, -v26
	v_fma_f16 v41, v79, 2.0, -v40
	;; [unrolled: 1-line block ×3, first 2 shown]
	v_sub_f16_e32 v20, v25, v29
	v_sub_f16_e32 v27, v23, v39
	v_fma_f16 v26, v26, 2.0, -v51
	v_sub_f16_e32 v1, v43, v32
	v_fma_f16 v54, v22, 2.0, -v52
	v_fma_f16 v56, v24, 2.0, -v53
	v_sub_f16_e32 v22, v46, v47
	v_sub_f16_e32 v24, v31, v0
	v_fma_f16 v28, v28, 2.0, -v18
	v_sub_f16_e32 v32, v48, v50
	v_fma_f16 v33, v33, 2.0, -v19
	v_sub_f16_e32 v29, v16, v41
	v_sub_f16_e32 v49, v45, v44
	v_fma_f16 v25, v25, 2.0, -v20
	v_sub_f16_e32 v44, v30, v2
	v_fma_f16 v23, v23, 2.0, -v27
	v_fmamk_f16 v55, v52, 0x39a8, v51
	v_fmamk_f16 v0, v19, 0x39a8, v18
	v_fma_f16 v46, v46, 2.0, -v22
	v_fma_f16 v50, v31, 2.0, -v24
	v_fma_f16 v31, v48, 2.0, -v32
	v_fmamk_f16 v58, v54, 0xb9a8, v26
	v_fmamk_f16 v2, v33, 0xb9a8, v28
	;; [unrolled: 1-line block ×3, first 2 shown]
	v_fma_f16 v57, v16, 2.0, -v29
	v_fma_f16 v16, v43, 2.0, -v1
	;; [unrolled: 1-line block ×3, first 2 shown]
	v_add_f16_e32 v59, v29, v49
	v_fmac_f16_e32 v55, 0x39a8, v53
	v_fmamk_f16 v41, v23, 0xb9a8, v25
	v_add_f16_e32 v60, v22, v44
	v_fmac_f16_e32 v0, 0x39a8, v27
	v_fmac_f16_e32 v58, 0x39a8, v56
	v_sub_f16_e32 v44, v46, v31
	v_fmac_f16_e32 v2, 0x39a8, v23
	v_sub_f16_e32 v61, v24, v32
	;; [unrolled: 2-line block ×3, first 2 shown]
	v_fma_f16 v27, v29, 2.0, -v59
	v_fma_f16 v29, v51, 2.0, -v55
	v_fmac_f16_e32 v41, 0xb9a8, v33
	v_fma_f16 v62, v22, 2.0, -v60
	v_fma_f16 v43, v18, 2.0, -v0
	;; [unrolled: 1-line block ×5, first 2 shown]
	v_sub_f16_e32 v51, v50, v30
	v_fma_f16 v63, v24, 2.0, -v61
	v_fma_f16 v47, v20, 2.0, -v39
	v_fmamk_f16 v18, v60, 0x39a8, v59
	v_fmamk_f16 v16, v0, 0x3b64, v55
	v_fma_f16 v20, v57, 2.0, -v19
	v_fma_f16 v48, v25, 2.0, -v41
	v_fmamk_f16 v24, v62, 0xb9a8, v27
	v_fmamk_f16 v25, v43, 0xb61f, v29
	;; [unrolled: 1-line block ×4, first 2 shown]
	v_add_f16_e32 v26, v19, v51
	v_fmac_f16_e32 v18, 0x39a8, v61
	v_fmac_f16_e32 v16, 0x361f, v39
	v_sub_f16_e32 v23, v20, v23
	v_fmac_f16_e32 v24, 0x39a8, v63
	v_fmac_f16_e32 v25, 0x3b64, v47
	v_fmac_f16_e32 v28, 0x3b64, v41
	v_fmac_f16_e32 v30, 0x361f, v48
	v_fma_f16 v19, v19, 2.0, -v26
	v_fma_f16 v31, v59, 2.0, -v18
	;; [unrolled: 1-line block ×8, first 2 shown]
	ds_store_b16 v35, v23 offset:288
	ds_store_b16 v35, v30 offset:324
	;; [unrolled: 1-line block ×8, first 2 shown]
	ds_store_b16 v35, v20
	ds_store_b16 v35, v22 offset:36
	ds_store_b16 v35, v27 offset:72
	;; [unrolled: 1-line block ×7, first 2 shown]
	s_waitcnt lgkmcnt(0)
	s_barrier
	buffer_gl0_inv
	ds_load_u16 v23, v11
	ds_load_u16 v19, v11 offset:684
	ds_load_u16 v25, v11 offset:792
	ds_load_u16 v28, v11 offset:900
	ds_load_u16 v30, v11 offset:1152
	ds_load_u16 v32, v11 offset:1008
	ds_load_u16 v31, v11 offset:576
	ds_load_u16 v18, v11 offset:108
	ds_load_u16 v22, v11 offset:1260
	ds_load_u16 v26, v11 offset:1368
	ds_load_u16 v29, v11 offset:1476
	ds_load_u16 v24, v21 offset:324
	ds_load_u16 v27, v21 offset:432
	ds_load_u16 v20, v21 offset:216
	ds_load_u16 v33, v11 offset:1584
	v_mul_f16_e32 v55, 0x39a8, v54
	v_mul_f16_e32 v58, 0x39a8, v56
	;; [unrolled: 1-line block ×8, first 2 shown]
	s_and_saveexec_b32 s1, vcc_lo
	s_cbranch_execz .LBB0_29
; %bb.28:
	ds_load_u16 v9, v11 offset:1116
	ds_load_u16 v16, v21 offset:540
	;; [unrolled: 1-line block ×3, first 2 shown]
.LBB0_29:
	s_or_b32 exec_lo, exec_lo, s1
	v_mul_f16_e32 v34, v34, v37
	v_fma_f16 v37, v45, 2.0, -v49
	s_waitcnt lgkmcnt(0)
	s_barrier
	buffer_gl0_inv
	v_fma_f16 v3, v36, v3, -v34
	v_fma_f16 v34, v38, 2.0, -v42
	v_fma_f16 v38, v50, 2.0, -v51
	s_delay_alu instid0(VALU_DEP_3) | instskip(NEXT) | instid1(VALU_DEP_1)
	v_sub_f16_e32 v3, v17, v3
	v_fma_f16 v17, v17, 2.0, -v3
	v_sub_f16_e32 v36, v3, v40
	s_delay_alu instid0(VALU_DEP_2) | instskip(NEXT) | instid1(VALU_DEP_2)
	v_sub_f16_e32 v34, v17, v34
	v_fma_f16 v3, v3, 2.0, -v36
	v_add_f16_e32 v40, v36, v59
	s_delay_alu instid0(VALU_DEP_3) | instskip(NEXT) | instid1(VALU_DEP_3)
	v_fma_f16 v42, v17, 2.0, -v34
	v_sub_f16_e32 v17, v3, v58
	s_delay_alu instid0(VALU_DEP_3) | instskip(SKIP_1) | instid1(VALU_DEP_4)
	v_sub_f16_e32 v40, v40, v57
	v_sub_f16_e32 v1, v34, v1
	;; [unrolled: 1-line block ×3, first 2 shown]
	s_delay_alu instid0(VALU_DEP_4) | instskip(NEXT) | instid1(VALU_DEP_4)
	v_sub_f16_e32 v45, v17, v55
	v_fmamk_f16 v17, v39, 0x3b64, v40
	s_delay_alu instid0(VALU_DEP_4)
	v_fma_f16 v34, v34, 2.0, -v1
	v_fma_f16 v36, v36, 2.0, -v40
	;; [unrolled: 1-line block ×4, first 2 shown]
	v_fmac_f16_e32 v17, 0xb61f, v0
	v_sub_f16_e32 v42, v34, v54
	v_fmamk_f16 v47, v47, 0xb61f, v36
	v_fmamk_f16 v41, v41, 0x361f, v45
	;; [unrolled: 1-line block ×3, first 2 shown]
	v_add_f16_e32 v49, v1, v56
	v_sub_f16_e32 v38, v39, v38
	v_sub_f16_e32 v42, v42, v52
	v_fmac_f16_e32 v47, 0xbb64, v43
	v_fmac_f16_e32 v0, 0xb61f, v46
	v_sub_f16_e32 v44, v37, v44
	v_fmac_f16_e32 v41, 0xbb64, v2
	v_sub_f16_e32 v49, v49, v53
	v_fma_f16 v39, v39, 2.0, -v38
	v_fma_f16 v3, v3, 2.0, -v0
	;; [unrolled: 1-line block ×8, first 2 shown]
	ds_store_b16 v35, v39
	ds_store_b16 v35, v3 offset:36
	ds_store_b16 v35, v34 offset:72
	;; [unrolled: 1-line block ×15, first 2 shown]
	s_waitcnt lgkmcnt(0)
	s_barrier
	buffer_gl0_inv
	ds_load_u16 v37, v11
	ds_load_u16 v34, v11 offset:684
	ds_load_u16 v39, v11 offset:792
	ds_load_u16 v42, v11 offset:900
	ds_load_u16 v44, v11 offset:1152
	ds_load_u16 v46, v11 offset:1008
	ds_load_u16 v45, v11 offset:576
	ds_load_u16 v3, v11 offset:108
	ds_load_u16 v36, v11 offset:1260
	ds_load_u16 v40, v11 offset:1368
	ds_load_u16 v43, v11 offset:1476
	ds_load_u16 v38, v21 offset:324
	ds_load_u16 v41, v21 offset:432
	ds_load_u16 v35, v21 offset:216
	ds_load_u16 v47, v11 offset:1584
	s_and_saveexec_b32 s1, vcc_lo
	s_cbranch_execz .LBB0_31
; %bb.30:
	ds_load_u16 v14, v11 offset:1116
	ds_load_u16 v17, v21 offset:540
	;; [unrolled: 1-line block ×3, first 2 shown]
.LBB0_31:
	s_or_b32 exec_lo, exec_lo, s1
	s_and_saveexec_b32 s1, s0
	s_cbranch_execz .LBB0_34
; %bb.32:
	v_dual_mov_b32 v1, 0 :: v_dual_lshlrev_b32 v48, 1, v8
	v_mad_u64_u32 v[56:57], null, s2, v6, 0
	v_add_nc_u32_e32 v21, 54, v8
	s_delay_alu instid0(VALU_DEP_3) | instskip(SKIP_1) | instid1(VALU_DEP_3)
	v_dual_mov_b32 v49, v1 :: v_dual_add_nc_u32 v0, 0x1b0, v48
	v_dual_mov_b32 v58, v1 :: v_dual_add_nc_u32 v63, 0xd8, v8
	v_mul_hi_u32 v64, 0x38e38e39, v21
	s_delay_alu instid0(VALU_DEP_3)
	v_lshlrev_b64 v[50:51], 2, v[0:1]
	v_add_nc_u32_e32 v0, 0x144, v48
	v_lshlrev_b64 v[48:49], 2, v[48:49]
	v_dual_mov_b32 v60, v1 :: v_dual_add_nc_u32 v61, 0x6c, v8
	v_mov_b32_e32 v59, v1
	v_add_co_u32 v50, s0, s4, v50
	v_lshlrev_b64 v[52:53], 2, v[0:1]
	v_lshlrev_b32_e32 v0, 1, v13
	v_add_co_ci_u32_e64 v51, s0, s5, v51, s0
	v_add_co_u32 v48, s0, s4, v48
	s_delay_alu instid0(VALU_DEP_1) | instskip(NEXT) | instid1(VALU_DEP_4)
	v_add_co_ci_u32_e64 v49, s0, s5, v49, s0
	v_lshlrev_b64 v[54:55], 2, v[0:1]
	v_lshlrev_b32_e32 v0, 1, v12
	v_add_co_u32 v52, s0, s4, v52
	s_delay_alu instid0(VALU_DEP_1)
	v_add_co_ci_u32_e64 v53, s0, s5, v53, s0
	s_clause 0x1
	global_load_b64 v[50:51], v[50:51], off offset:1140
	global_load_b64 v[48:49], v[48:49], off offset:1140
	v_lshlrev_b64 v[11:12], 2, v[0:1]
	v_add_co_u32 v54, s0, s4, v54
	global_load_b64 v[52:53], v[52:53], off offset:1140
	v_add_co_ci_u32_e64 v55, s0, s5, v55, s0
	v_add_co_u32 v11, s0, s4, v11
	s_delay_alu instid0(VALU_DEP_1)
	v_add_co_ci_u32_e64 v12, s0, s5, v12, s0
	global_load_b64 v[54:55], v[54:55], off offset:1140
	v_mul_lo_u32 v0, s3, v6
	v_mul_hi_u32 v6, 0x38e38e39, v8
	global_load_b64 v[11:12], v[11:12], off offset:1140
	v_mul_lo_u32 v13, s2, v7
	v_mul_hi_u32 v65, 0x38e38e39, v61
	v_add_nc_u32_e32 v62, 0xa2, v8
	v_lshlrev_b64 v[4:5], 2, v[4:5]
	v_dual_mov_b32 v7, v1 :: v_dual_add_nc_u32 v2, 0x10e, v8
	v_lshrrev_b32_e32 v6, 6, v6
	s_delay_alu instid0(VALU_DEP_4)
	v_mul_hi_u32 v66, 0x38e38e39, v62
	v_add3_u32 v57, v57, v13, v0
	v_mul_hi_u32 v0, 0x38e38e39, v63
	v_lshrrev_b32_e32 v13, 6, v64
	v_mul_u32_u24_e32 v6, 0x120, v6
	v_lshrrev_b32_e32 v65, 6, v65
	v_lshlrev_b64 v[56:57], 2, v[56:57]
	v_cmp_gt_u32_e64 s0, 0x120, v2
	v_lshrrev_b32_e32 v71, 6, v66
	v_lshrrev_b32_e32 v77, 6, v0
	v_sub_nc_u32_e32 v0, v8, v6
	v_mul_u32_u24_e32 v6, 0x120, v13
	v_add_co_u32 v56, s1, s10, v56
	v_mul_u32_u24_e32 v64, 0x120, v65
	v_add_co_ci_u32_e64 v57, s1, s11, v57, s1
	s_delay_alu instid0(VALU_DEP_4) | instskip(SKIP_3) | instid1(VALU_DEP_4)
	v_sub_nc_u32_e32 v6, v21, v6
	v_lshlrev_b32_e32 v21, 2, v0
	v_add_co_u32 v4, s1, v56, v4
	v_mul_u32_u24_e32 v67, 0x120, v77
	v_mad_u32_u24 v0, 0x360, v13, v6
	v_sub_nc_u32_e32 v68, v61, v64
	v_add_co_ci_u32_e64 v5, s1, v57, v5, s1
	v_mul_u32_u24_e32 v66, 0x120, v71
	s_delay_alu instid0(VALU_DEP_4)
	v_lshlrev_b64 v[56:57], 2, v[0:1]
	v_add_nc_u32_e32 v6, 0x120, v0
	v_add_nc_u32_e32 v0, 0x240, v0
	v_sub_nc_u32_e32 v78, v63, v67
	v_add_co_u32 v61, s1, v4, v21
	v_sub_nc_u32_e32 v72, v62, v66
	s_delay_alu instid0(VALU_DEP_4) | instskip(SKIP_3) | instid1(VALU_DEP_1)
	v_lshlrev_b64 v[63:64], 2, v[0:1]
	v_mad_u32_u24 v0, 0x360, v65, v68
	v_add_co_ci_u32_e64 v62, s1, 0, v5, s1
	v_add_co_u32 v65, s1, v4, v56
	v_add_co_ci_u32_e64 v66, s1, v5, v57, s1
	s_delay_alu instid0(VALU_DEP_4) | instskip(SKIP_3) | instid1(VALU_DEP_3)
	v_lshlrev_b64 v[67:68], 2, v[0:1]
	v_add_nc_u32_e32 v57, 0x120, v0
	v_add_nc_u32_e32 v0, 0x240, v0
	v_lshlrev_b64 v[6:7], 2, v[6:7]
	v_lshlrev_b64 v[56:57], 2, v[57:58]
	s_delay_alu instid0(VALU_DEP_3) | instskip(SKIP_1) | instid1(VALU_DEP_4)
	v_lshlrev_b64 v[69:70], 2, v[0:1]
	v_mad_u32_u24 v0, 0x360, v71, v72
	v_add_co_u32 v6, s1, v4, v6
	s_delay_alu instid0(VALU_DEP_1) | instskip(NEXT) | instid1(VALU_DEP_3)
	v_add_co_ci_u32_e64 v7, s1, v5, v7, s1
	v_lshlrev_b64 v[71:72], 2, v[0:1]
	v_add_nc_u32_e32 v58, 0x120, v0
	v_add_nc_u32_e32 v0, 0x240, v0
	v_add_co_u32 v63, s1, v4, v63
	s_delay_alu instid0(VALU_DEP_1) | instskip(NEXT) | instid1(VALU_DEP_3)
	v_add_co_ci_u32_e64 v64, s1, v5, v64, s1
	v_lshlrev_b64 v[75:76], 2, v[0:1]
	v_mad_u32_u24 v0, 0x360, v77, v78
	v_lshlrev_b64 v[73:74], 2, v[58:59]
	v_add_co_u32 v67, s1, v4, v67
	s_delay_alu instid0(VALU_DEP_1) | instskip(NEXT) | instid1(VALU_DEP_4)
	v_add_co_ci_u32_e64 v68, s1, v5, v68, s1
	v_lshlrev_b64 v[77:78], 2, v[0:1]
	v_add_nc_u32_e32 v59, 0x120, v0
	v_add_nc_u32_e32 v0, 0x240, v0
	v_add_co_u32 v56, s1, v4, v56
	s_delay_alu instid0(VALU_DEP_1) | instskip(NEXT) | instid1(VALU_DEP_3)
	v_add_co_ci_u32_e64 v57, s1, v5, v57, s1
	v_lshlrev_b64 v[79:80], 2, v[0:1]
	v_lshlrev_b64 v[58:59], 2, v[59:60]
	v_add_co_u32 v69, s1, v4, v69
	s_delay_alu instid0(VALU_DEP_1) | instskip(SKIP_1) | instid1(VALU_DEP_1)
	v_add_co_ci_u32_e64 v70, s1, v5, v70, s1
	v_add_co_u32 v71, s1, v4, v71
	v_add_co_ci_u32_e64 v72, s1, v5, v72, s1
	v_add_co_u32 v73, s1, v4, v73
	s_delay_alu instid0(VALU_DEP_1) | instskip(SKIP_1) | instid1(VALU_DEP_1)
	v_add_co_ci_u32_e64 v74, s1, v5, v74, s1
	v_add_co_u32 v75, s1, v4, v75
	v_add_co_ci_u32_e64 v76, s1, v5, v76, s1
	;; [unrolled: 5-line block ×3, first 2 shown]
	v_add_co_u32 v79, s1, v4, v79
	s_delay_alu instid0(VALU_DEP_1)
	v_add_co_ci_u32_e64 v80, s1, v5, v80, s1
	s_waitcnt vmcnt(4)
	v_lshrrev_b32_e32 v0, 16, v50
	v_lshrrev_b32_e32 v13, 16, v51
	s_waitcnt vmcnt(3)
	v_lshrrev_b32_e32 v21, 16, v48
	v_lshrrev_b32_e32 v60, 16, v49
	v_mul_f16_e32 v81, v32, v0
	v_mul_f16_e32 v82, v33, v13
	s_waitcnt lgkmcnt(9)
	v_mul_f16_e32 v0, v46, v0
	s_waitcnt lgkmcnt(0)
	v_mul_f16_e32 v13, v47, v13
	s_waitcnt vmcnt(2)
	v_lshrrev_b32_e32 v83, 16, v52
	v_lshrrev_b32_e32 v84, 16, v53
	v_fma_f16 v46, v46, v50, -v81
	v_fma_f16 v47, v47, v51, -v82
	v_fmac_f16_e32 v0, v32, v50
	v_fmac_f16_e32 v13, v33, v51
	v_mul_f16_e32 v32, v28, v83
	v_mul_f16_e32 v33, v29, v84
	;; [unrolled: 1-line block ×4, first 2 shown]
	s_waitcnt vmcnt(1)
	v_lshrrev_b32_e32 v81, 16, v54
	v_lshrrev_b32_e32 v82, 16, v55
	v_mul_f16_e32 v85, v31, v21
	v_mul_f16_e32 v86, v30, v60
	;; [unrolled: 1-line block ×4, first 2 shown]
	v_fma_f16 v32, v42, v52, -v32
	v_fma_f16 v33, v43, v53, -v33
	v_fmac_f16_e32 v50, v28, v52
	v_fmac_f16_e32 v51, v29, v53
	v_mul_f16_e32 v28, v25, v81
	v_mul_f16_e32 v29, v26, v82
	;; [unrolled: 1-line block ×4, first 2 shown]
	s_waitcnt vmcnt(0)
	v_lshrrev_b32_e32 v52, 16, v11
	v_lshrrev_b32_e32 v53, 16, v12
	v_fma_f16 v45, v45, v48, -v85
	v_fma_f16 v44, v44, v49, -v86
	v_fmac_f16_e32 v21, v31, v48
	v_fmac_f16_e32 v60, v30, v49
	v_add_f16_e32 v30, v46, v47
	v_sub_f16_e32 v31, v0, v13
	v_add_f16_e32 v48, v0, v13
	v_add_f16_e32 v0, v27, v0
	v_fma_f16 v28, v39, v54, -v28
	v_fma_f16 v29, v40, v55, -v29
	v_fmac_f16_e32 v42, v25, v54
	v_fmac_f16_e32 v43, v26, v55
	v_mul_f16_e32 v25, v19, v52
	v_mul_f16_e32 v26, v22, v53
	;; [unrolled: 1-line block ×4, first 2 shown]
	v_add_f16_e32 v81, v45, v44
	v_add_f16_e32 v83, v21, v60
	v_sub_f16_e32 v49, v46, v47
	v_add_f16_e32 v46, v41, v46
	v_sub_f16_e32 v84, v45, v44
	v_add_f16_e32 v45, v37, v45
	v_fma_f16 v30, -0.5, v30, v41
	v_fma_f16 v27, -0.5, v48, v27
	v_add_f16_e32 v0, v0, v13
	v_add_f16_e32 v13, v32, v33
	v_sub_f16_e32 v48, v32, v33
	v_add_f16_e32 v32, v38, v32
	v_sub_f16_e32 v82, v21, v60
	v_add_f16_e32 v21, v23, v21
	v_fma_f16 v25, v34, v11, -v25
	v_fma_f16 v26, v36, v12, -v26
	v_fmac_f16_e32 v39, v19, v11
	v_fmac_f16_e32 v40, v22, v12
	v_fma_f16 v37, -0.5, v81, v37
	v_fma_f16 v23, -0.5, v83, v23
	v_add_f16_e32 v41, v46, v47
	v_add_f16_e32 v47, v50, v51
	;; [unrolled: 1-line block ×3, first 2 shown]
	v_fmamk_f16 v45, v31, 0xbaee, v30
	v_fmac_f16_e32 v30, 0x3aee, v31
	v_add_f16_e32 v31, v32, v33
	v_add_f16_e32 v33, v28, v29
	;; [unrolled: 1-line block ×5, first 2 shown]
	v_fmamk_f16 v11, v82, 0xbaee, v37
	v_fmamk_f16 v12, v84, 0x3aee, v23
	v_fmac_f16_e32 v37, 0x3aee, v82
	v_fmac_f16_e32 v23, 0xbaee, v84
	v_sub_f16_e32 v46, v50, v51
	v_add_f16_e32 v50, v24, v50
	v_fma_f16 v24, -0.5, v47, v24
	v_add_f16_e32 v47, v42, v43
	v_fmamk_f16 v52, v49, 0x3aee, v27
	v_fmac_f16_e32 v27, 0xbaee, v49
	v_fma_f16 v13, -0.5, v13, v38
	v_sub_f16_e32 v49, v28, v29
	v_add_f16_e32 v28, v35, v28
	v_pack_b32_f16 v0, v0, v41
	v_fma_f16 v33, -0.5, v33, v35
	v_sub_f16_e32 v35, v39, v40
	v_sub_f16_e32 v41, v25, v26
	v_add_f16_e32 v25, v3, v25
	v_add_f16_e32 v39, v18, v39
	v_pack_b32_f16 v19, v21, v44
	v_fma_f16 v3, -0.5, v34, v3
	v_fma_f16 v18, -0.5, v36, v18
	v_pack_b32_f16 v23, v23, v37
	v_sub_f16_e32 v38, v42, v43
	v_add_f16_e32 v42, v20, v42
	v_pack_b32_f16 v11, v12, v11
	v_add_f16_e32 v32, v50, v51
	v_fma_f16 v20, -0.5, v47, v20
	v_fmamk_f16 v21, v46, 0xbaee, v13
	v_fmamk_f16 v22, v48, 0x3aee, v24
	v_add_f16_e32 v25, v25, v26
	v_add_f16_e32 v26, v39, v40
	s_clause 0x2
	global_store_b32 v[61:62], v19, off
	global_store_b32 v[61:62], v23, off offset:1152
	global_store_b32 v[61:62], v11, off offset:2304
	v_fmamk_f16 v11, v35, 0xbaee, v3
	v_fmamk_f16 v19, v41, 0x3aee, v18
	v_fmac_f16_e32 v3, 0x3aee, v35
	v_fmac_f16_e32 v18, 0xbaee, v41
	v_add_f16_e32 v28, v28, v29
	v_add_f16_e32 v29, v42, v43
	v_pack_b32_f16 v12, v32, v31
	v_fmamk_f16 v31, v38, 0xbaee, v33
	v_fmamk_f16 v32, v49, 0x3aee, v20
	v_fmac_f16_e32 v33, 0x3aee, v38
	v_fmac_f16_e32 v20, 0xbaee, v49
	;; [unrolled: 1-line block ×4, first 2 shown]
	v_pack_b32_f16 v21, v22, v21
	v_pack_b32_f16 v22, v26, v25
	;; [unrolled: 1-line block ×10, first 2 shown]
	s_clause 0xb
	global_store_b32 v[65:66], v22, off
	global_store_b32 v[6:7], v3, off
	;; [unrolled: 1-line block ×12, first 2 shown]
	s_and_b32 exec_lo, exec_lo, s0
	s_cbranch_execz .LBB0_34
; %bb.33:
	v_dual_mov_b32 v0, 0x10e :: v_dual_mov_b32 v3, v1
	s_delay_alu instid0(VALU_DEP_1) | instskip(NEXT) | instid1(VALU_DEP_2)
	v_cndmask_b32_e32 v0, 0xffffffee, v0, vcc_lo
	v_lshlrev_b64 v[2:3], 2, v[2:3]
	s_delay_alu instid0(VALU_DEP_2) | instskip(NEXT) | instid1(VALU_DEP_1)
	v_add_lshl_u32 v0, v8, v0, 1
	v_lshlrev_b64 v[6:7], 2, v[0:1]
	v_add_nc_u32_e32 v0, 0x22e, v8
	s_delay_alu instid0(VALU_DEP_1) | instskip(NEXT) | instid1(VALU_DEP_3)
	v_lshlrev_b64 v[11:12], 2, v[0:1]
	v_add_co_u32 v6, vcc_lo, s4, v6
	s_delay_alu instid0(VALU_DEP_4)
	v_add_co_ci_u32_e32 v7, vcc_lo, s5, v7, vcc_lo
	v_add_nc_u32_e32 v0, 0x34e, v8
	v_add_co_u32 v2, vcc_lo, v4, v2
	global_load_b64 v[6:7], v[6:7], off offset:1140
	v_add_co_ci_u32_e32 v3, vcc_lo, v5, v3, vcc_lo
	v_lshlrev_b64 v[0:1], 2, v[0:1]
	s_waitcnt vmcnt(0)
	v_lshrrev_b32_e32 v13, 16, v6
	v_lshrrev_b32_e32 v18, 16, v7
	s_delay_alu instid0(VALU_DEP_2) | instskip(SKIP_1) | instid1(VALU_DEP_3)
	v_mul_f16_e32 v8, v14, v13
	v_mul_f16_e32 v13, v9, v13
	;; [unrolled: 1-line block ×4, first 2 shown]
	s_delay_alu instid0(VALU_DEP_4) | instskip(NEXT) | instid1(VALU_DEP_4)
	v_fmac_f16_e32 v8, v9, v6
	v_fma_f16 v9, v14, v6, -v13
	s_delay_alu instid0(VALU_DEP_4) | instskip(NEXT) | instid1(VALU_DEP_4)
	v_fmac_f16_e32 v19, v10, v7
	v_fma_f16 v10, v15, v7, -v18
	v_add_co_u32 v6, vcc_lo, v4, v11
	v_add_co_ci_u32_e32 v7, vcc_lo, v5, v12, vcc_lo
	s_delay_alu instid0(VALU_DEP_4) | instskip(NEXT) | instid1(VALU_DEP_4)
	v_add_f16_e32 v11, v8, v19
	v_add_f16_e32 v13, v9, v10
	;; [unrolled: 1-line block ×3, first 2 shown]
	v_sub_f16_e32 v14, v9, v10
	v_add_f16_e32 v9, v17, v9
	v_fmac_f16_e32 v16, -0.5, v11
	v_sub_f16_e32 v8, v8, v19
	v_fmac_f16_e32 v17, -0.5, v13
	v_add_f16_e32 v11, v12, v19
	v_add_f16_e32 v9, v9, v10
	v_fmamk_f16 v10, v14, 0xbaee, v16
	v_fmac_f16_e32 v16, 0x3aee, v14
	v_fmamk_f16 v12, v8, 0x3aee, v17
	v_fmac_f16_e32 v17, 0xbaee, v8
	v_add_co_u32 v0, vcc_lo, v4, v0
	v_pack_b32_f16 v4, v11, v9
	v_add_co_ci_u32_e32 v1, vcc_lo, v5, v1, vcc_lo
	v_pack_b32_f16 v5, v10, v12
	v_pack_b32_f16 v8, v16, v17
	s_clause 0x2
	global_store_b32 v[2:3], v4, off
	global_store_b32 v[6:7], v5, off
	;; [unrolled: 1-line block ×3, first 2 shown]
.LBB0_34:
	s_nop 0
	s_sendmsg sendmsg(MSG_DEALLOC_VGPRS)
	s_endpgm
	.section	.rodata,"a",@progbits
	.p2align	6, 0x0
	.amdhsa_kernel fft_rtc_back_len864_factors_3_6_16_3_wgs_54_tpt_54_halfLds_half_op_CI_CI_unitstride_sbrr_dirReg
		.amdhsa_group_segment_fixed_size 0
		.amdhsa_private_segment_fixed_size 0
		.amdhsa_kernarg_size 104
		.amdhsa_user_sgpr_count 15
		.amdhsa_user_sgpr_dispatch_ptr 0
		.amdhsa_user_sgpr_queue_ptr 0
		.amdhsa_user_sgpr_kernarg_segment_ptr 1
		.amdhsa_user_sgpr_dispatch_id 0
		.amdhsa_user_sgpr_private_segment_size 0
		.amdhsa_wavefront_size32 1
		.amdhsa_uses_dynamic_stack 0
		.amdhsa_enable_private_segment 0
		.amdhsa_system_sgpr_workgroup_id_x 1
		.amdhsa_system_sgpr_workgroup_id_y 0
		.amdhsa_system_sgpr_workgroup_id_z 0
		.amdhsa_system_sgpr_workgroup_info 0
		.amdhsa_system_vgpr_workitem_id 0
		.amdhsa_next_free_vgpr 91
		.amdhsa_next_free_sgpr 27
		.amdhsa_reserve_vcc 1
		.amdhsa_float_round_mode_32 0
		.amdhsa_float_round_mode_16_64 0
		.amdhsa_float_denorm_mode_32 3
		.amdhsa_float_denorm_mode_16_64 3
		.amdhsa_dx10_clamp 1
		.amdhsa_ieee_mode 1
		.amdhsa_fp16_overflow 0
		.amdhsa_workgroup_processor_mode 1
		.amdhsa_memory_ordered 1
		.amdhsa_forward_progress 0
		.amdhsa_shared_vgpr_count 0
		.amdhsa_exception_fp_ieee_invalid_op 0
		.amdhsa_exception_fp_denorm_src 0
		.amdhsa_exception_fp_ieee_div_zero 0
		.amdhsa_exception_fp_ieee_overflow 0
		.amdhsa_exception_fp_ieee_underflow 0
		.amdhsa_exception_fp_ieee_inexact 0
		.amdhsa_exception_int_div_zero 0
	.end_amdhsa_kernel
	.text
.Lfunc_end0:
	.size	fft_rtc_back_len864_factors_3_6_16_3_wgs_54_tpt_54_halfLds_half_op_CI_CI_unitstride_sbrr_dirReg, .Lfunc_end0-fft_rtc_back_len864_factors_3_6_16_3_wgs_54_tpt_54_halfLds_half_op_CI_CI_unitstride_sbrr_dirReg
                                        ; -- End function
	.section	.AMDGPU.csdata,"",@progbits
; Kernel info:
; codeLenInByte = 9500
; NumSgprs: 29
; NumVgprs: 91
; ScratchSize: 0
; MemoryBound: 0
; FloatMode: 240
; IeeeMode: 1
; LDSByteSize: 0 bytes/workgroup (compile time only)
; SGPRBlocks: 3
; VGPRBlocks: 11
; NumSGPRsForWavesPerEU: 29
; NumVGPRsForWavesPerEU: 91
; Occupancy: 16
; WaveLimiterHint : 1
; COMPUTE_PGM_RSRC2:SCRATCH_EN: 0
; COMPUTE_PGM_RSRC2:USER_SGPR: 15
; COMPUTE_PGM_RSRC2:TRAP_HANDLER: 0
; COMPUTE_PGM_RSRC2:TGID_X_EN: 1
; COMPUTE_PGM_RSRC2:TGID_Y_EN: 0
; COMPUTE_PGM_RSRC2:TGID_Z_EN: 0
; COMPUTE_PGM_RSRC2:TIDIG_COMP_CNT: 0
	.text
	.p2alignl 7, 3214868480
	.fill 96, 4, 3214868480
	.type	__hip_cuid_665c370acd8ef2a4,@object ; @__hip_cuid_665c370acd8ef2a4
	.section	.bss,"aw",@nobits
	.globl	__hip_cuid_665c370acd8ef2a4
__hip_cuid_665c370acd8ef2a4:
	.byte	0                               ; 0x0
	.size	__hip_cuid_665c370acd8ef2a4, 1

	.ident	"AMD clang version 19.0.0git (https://github.com/RadeonOpenCompute/llvm-project roc-6.4.0 25133 c7fe45cf4b819c5991fe208aaa96edf142730f1d)"
	.section	".note.GNU-stack","",@progbits
	.addrsig
	.addrsig_sym __hip_cuid_665c370acd8ef2a4
	.amdgpu_metadata
---
amdhsa.kernels:
  - .args:
      - .actual_access:  read_only
        .address_space:  global
        .offset:         0
        .size:           8
        .value_kind:     global_buffer
      - .offset:         8
        .size:           8
        .value_kind:     by_value
      - .actual_access:  read_only
        .address_space:  global
        .offset:         16
        .size:           8
        .value_kind:     global_buffer
      - .actual_access:  read_only
        .address_space:  global
        .offset:         24
        .size:           8
        .value_kind:     global_buffer
      - .actual_access:  read_only
        .address_space:  global
        .offset:         32
        .size:           8
        .value_kind:     global_buffer
      - .offset:         40
        .size:           8
        .value_kind:     by_value
      - .actual_access:  read_only
        .address_space:  global
        .offset:         48
        .size:           8
        .value_kind:     global_buffer
      - .actual_access:  read_only
        .address_space:  global
        .offset:         56
        .size:           8
        .value_kind:     global_buffer
      - .offset:         64
        .size:           4
        .value_kind:     by_value
      - .actual_access:  read_only
        .address_space:  global
        .offset:         72
        .size:           8
        .value_kind:     global_buffer
      - .actual_access:  read_only
        .address_space:  global
        .offset:         80
        .size:           8
        .value_kind:     global_buffer
      - .actual_access:  read_only
        .address_space:  global
        .offset:         88
        .size:           8
        .value_kind:     global_buffer
      - .actual_access:  write_only
        .address_space:  global
        .offset:         96
        .size:           8
        .value_kind:     global_buffer
    .group_segment_fixed_size: 0
    .kernarg_segment_align: 8
    .kernarg_segment_size: 104
    .language:       OpenCL C
    .language_version:
      - 2
      - 0
    .max_flat_workgroup_size: 54
    .name:           fft_rtc_back_len864_factors_3_6_16_3_wgs_54_tpt_54_halfLds_half_op_CI_CI_unitstride_sbrr_dirReg
    .private_segment_fixed_size: 0
    .sgpr_count:     29
    .sgpr_spill_count: 0
    .symbol:         fft_rtc_back_len864_factors_3_6_16_3_wgs_54_tpt_54_halfLds_half_op_CI_CI_unitstride_sbrr_dirReg.kd
    .uniform_work_group_size: 1
    .uses_dynamic_stack: false
    .vgpr_count:     91
    .vgpr_spill_count: 0
    .wavefront_size: 32
    .workgroup_processor_mode: 1
amdhsa.target:   amdgcn-amd-amdhsa--gfx1100
amdhsa.version:
  - 1
  - 2
...

	.end_amdgpu_metadata
